;; amdgpu-corpus repo=ROCm/rocFFT kind=compiled arch=gfx906 opt=O3
	.text
	.amdgcn_target "amdgcn-amd-amdhsa--gfx906"
	.amdhsa_code_object_version 6
	.protected	fft_rtc_fwd_len462_factors_11_6_7_wgs_231_tpt_77_dp_ip_CI_sbrr_dirReg ; -- Begin function fft_rtc_fwd_len462_factors_11_6_7_wgs_231_tpt_77_dp_ip_CI_sbrr_dirReg
	.globl	fft_rtc_fwd_len462_factors_11_6_7_wgs_231_tpt_77_dp_ip_CI_sbrr_dirReg
	.p2align	8
	.type	fft_rtc_fwd_len462_factors_11_6_7_wgs_231_tpt_77_dp_ip_CI_sbrr_dirReg,@function
fft_rtc_fwd_len462_factors_11_6_7_wgs_231_tpt_77_dp_ip_CI_sbrr_dirReg: ; @fft_rtc_fwd_len462_factors_11_6_7_wgs_231_tpt_77_dp_ip_CI_sbrr_dirReg
; %bb.0:
	s_load_dwordx2 s[14:15], s[4:5], 0x18
	s_load_dwordx4 s[8:11], s[4:5], 0x0
	s_load_dwordx2 s[12:13], s[4:5], 0x50
	v_mul_u32_u24_e32 v1, 0x354, v0
	v_lshrrev_b32_e32 v1, 16, v1
	s_waitcnt lgkmcnt(0)
	s_load_dwordx2 s[2:3], s[14:15], 0x0
	v_mad_u64_u32 v[1:2], s[0:1], s6, 3, v[1:2]
	v_mov_b32_e32 v5, 0
	v_cmp_lt_u64_e64 s[0:1], s[10:11], 2
	v_mov_b32_e32 v2, v5
	v_mov_b32_e32 v3, 0
	;; [unrolled: 1-line block ×3, first 2 shown]
	s_and_b64 vcc, exec, s[0:1]
	v_mov_b32_e32 v4, 0
	v_mov_b32_e32 v9, v1
	s_cbranch_vccnz .LBB0_8
; %bb.1:
	s_load_dwordx2 s[0:1], s[4:5], 0x10
	s_add_u32 s6, s14, 8
	s_addc_u32 s7, s15, 0
	v_mov_b32_e32 v3, 0
	v_mov_b32_e32 v8, v2
	s_waitcnt lgkmcnt(0)
	s_add_u32 s18, s0, 8
	s_mov_b64 s[16:17], 1
	v_mov_b32_e32 v4, 0
	s_addc_u32 s19, s1, 0
	v_mov_b32_e32 v7, v1
.LBB0_2:                                ; =>This Inner Loop Header: Depth=1
	s_load_dwordx2 s[20:21], s[18:19], 0x0
                                        ; implicit-def: $vgpr9_vgpr10
	s_waitcnt lgkmcnt(0)
	v_or_b32_e32 v6, s21, v8
	v_cmp_ne_u64_e32 vcc, 0, v[5:6]
	s_and_saveexec_b64 s[0:1], vcc
	s_xor_b64 s[22:23], exec, s[0:1]
	s_cbranch_execz .LBB0_4
; %bb.3:                                ;   in Loop: Header=BB0_2 Depth=1
	v_cvt_f32_u32_e32 v2, s20
	v_cvt_f32_u32_e32 v6, s21
	s_sub_u32 s0, 0, s20
	s_subb_u32 s1, 0, s21
	v_mac_f32_e32 v2, 0x4f800000, v6
	v_rcp_f32_e32 v2, v2
	v_mul_f32_e32 v2, 0x5f7ffffc, v2
	v_mul_f32_e32 v6, 0x2f800000, v2
	v_trunc_f32_e32 v6, v6
	v_mac_f32_e32 v2, 0xcf800000, v6
	v_cvt_u32_f32_e32 v6, v6
	v_cvt_u32_f32_e32 v2, v2
	v_mul_lo_u32 v9, s0, v6
	v_mul_hi_u32 v10, s0, v2
	v_mul_lo_u32 v12, s1, v2
	v_mul_lo_u32 v11, s0, v2
	v_add_u32_e32 v9, v10, v9
	v_add_u32_e32 v9, v9, v12
	v_mul_hi_u32 v10, v2, v11
	v_mul_lo_u32 v12, v2, v9
	v_mul_hi_u32 v14, v2, v9
	v_mul_hi_u32 v13, v6, v11
	v_mul_lo_u32 v11, v6, v11
	v_mul_hi_u32 v15, v6, v9
	v_add_co_u32_e32 v10, vcc, v10, v12
	v_addc_co_u32_e32 v12, vcc, 0, v14, vcc
	v_mul_lo_u32 v9, v6, v9
	v_add_co_u32_e32 v10, vcc, v10, v11
	v_addc_co_u32_e32 v10, vcc, v12, v13, vcc
	v_addc_co_u32_e32 v11, vcc, 0, v15, vcc
	v_add_co_u32_e32 v9, vcc, v10, v9
	v_addc_co_u32_e32 v10, vcc, 0, v11, vcc
	v_add_co_u32_e32 v2, vcc, v2, v9
	v_addc_co_u32_e32 v6, vcc, v6, v10, vcc
	v_mul_lo_u32 v9, s0, v6
	v_mul_hi_u32 v10, s0, v2
	v_mul_lo_u32 v11, s1, v2
	v_mul_lo_u32 v12, s0, v2
	v_add_u32_e32 v9, v10, v9
	v_add_u32_e32 v9, v9, v11
	v_mul_lo_u32 v13, v2, v9
	v_mul_hi_u32 v14, v2, v12
	v_mul_hi_u32 v15, v2, v9
	;; [unrolled: 1-line block ×3, first 2 shown]
	v_mul_lo_u32 v12, v6, v12
	v_mul_hi_u32 v10, v6, v9
	v_add_co_u32_e32 v13, vcc, v14, v13
	v_addc_co_u32_e32 v14, vcc, 0, v15, vcc
	v_mul_lo_u32 v9, v6, v9
	v_add_co_u32_e32 v12, vcc, v13, v12
	v_addc_co_u32_e32 v11, vcc, v14, v11, vcc
	v_addc_co_u32_e32 v10, vcc, 0, v10, vcc
	v_add_co_u32_e32 v9, vcc, v11, v9
	v_addc_co_u32_e32 v10, vcc, 0, v10, vcc
	v_add_co_u32_e32 v2, vcc, v2, v9
	v_addc_co_u32_e32 v6, vcc, v6, v10, vcc
	v_mad_u64_u32 v[9:10], s[0:1], v7, v6, 0
	v_mul_hi_u32 v11, v7, v2
	v_add_co_u32_e32 v13, vcc, v11, v9
	v_addc_co_u32_e32 v14, vcc, 0, v10, vcc
	v_mad_u64_u32 v[9:10], s[0:1], v8, v2, 0
	v_mad_u64_u32 v[11:12], s[0:1], v8, v6, 0
	v_add_co_u32_e32 v2, vcc, v13, v9
	v_addc_co_u32_e32 v2, vcc, v14, v10, vcc
	v_addc_co_u32_e32 v6, vcc, 0, v12, vcc
	v_add_co_u32_e32 v2, vcc, v2, v11
	v_addc_co_u32_e32 v6, vcc, 0, v6, vcc
	v_mul_lo_u32 v11, s21, v2
	v_mul_lo_u32 v12, s20, v6
	v_mad_u64_u32 v[9:10], s[0:1], s20, v2, 0
	v_add3_u32 v10, v10, v12, v11
	v_sub_u32_e32 v11, v8, v10
	v_mov_b32_e32 v12, s21
	v_sub_co_u32_e32 v9, vcc, v7, v9
	v_subb_co_u32_e64 v11, s[0:1], v11, v12, vcc
	v_subrev_co_u32_e64 v12, s[0:1], s20, v9
	v_subbrev_co_u32_e64 v11, s[0:1], 0, v11, s[0:1]
	v_cmp_le_u32_e64 s[0:1], s21, v11
	v_cndmask_b32_e64 v13, 0, -1, s[0:1]
	v_cmp_le_u32_e64 s[0:1], s20, v12
	v_cndmask_b32_e64 v12, 0, -1, s[0:1]
	v_cmp_eq_u32_e64 s[0:1], s21, v11
	v_cndmask_b32_e64 v11, v13, v12, s[0:1]
	v_add_co_u32_e64 v12, s[0:1], 2, v2
	v_addc_co_u32_e64 v13, s[0:1], 0, v6, s[0:1]
	v_add_co_u32_e64 v14, s[0:1], 1, v2
	v_addc_co_u32_e64 v15, s[0:1], 0, v6, s[0:1]
	v_subb_co_u32_e32 v10, vcc, v8, v10, vcc
	v_cmp_ne_u32_e64 s[0:1], 0, v11
	v_cmp_le_u32_e32 vcc, s21, v10
	v_cndmask_b32_e64 v11, v15, v13, s[0:1]
	v_cndmask_b32_e64 v13, 0, -1, vcc
	v_cmp_le_u32_e32 vcc, s20, v9
	v_cndmask_b32_e64 v9, 0, -1, vcc
	v_cmp_eq_u32_e32 vcc, s21, v10
	v_cndmask_b32_e32 v9, v13, v9, vcc
	v_cmp_ne_u32_e32 vcc, 0, v9
	v_cndmask_b32_e32 v10, v6, v11, vcc
	v_cndmask_b32_e64 v6, v14, v12, s[0:1]
	v_cndmask_b32_e32 v9, v2, v6, vcc
.LBB0_4:                                ;   in Loop: Header=BB0_2 Depth=1
	s_andn2_saveexec_b64 s[0:1], s[22:23]
	s_cbranch_execz .LBB0_6
; %bb.5:                                ;   in Loop: Header=BB0_2 Depth=1
	v_cvt_f32_u32_e32 v2, s20
	s_sub_i32 s22, 0, s20
	v_rcp_iflag_f32_e32 v2, v2
	v_mul_f32_e32 v2, 0x4f7ffffe, v2
	v_cvt_u32_f32_e32 v2, v2
	v_mul_lo_u32 v6, s22, v2
	v_mul_hi_u32 v6, v2, v6
	v_add_u32_e32 v2, v2, v6
	v_mul_hi_u32 v2, v7, v2
	v_mul_lo_u32 v6, v2, s20
	v_add_u32_e32 v9, 1, v2
	v_sub_u32_e32 v6, v7, v6
	v_subrev_u32_e32 v10, s20, v6
	v_cmp_le_u32_e32 vcc, s20, v6
	v_cndmask_b32_e32 v6, v6, v10, vcc
	v_cndmask_b32_e32 v2, v2, v9, vcc
	v_add_u32_e32 v9, 1, v2
	v_cmp_le_u32_e32 vcc, s20, v6
	v_cndmask_b32_e32 v9, v2, v9, vcc
	v_mov_b32_e32 v10, v5
.LBB0_6:                                ;   in Loop: Header=BB0_2 Depth=1
	s_or_b64 exec, exec, s[0:1]
	v_mul_lo_u32 v2, v10, s20
	v_mul_lo_u32 v6, v9, s21
	v_mad_u64_u32 v[11:12], s[0:1], v9, s20, 0
	s_load_dwordx2 s[0:1], s[6:7], 0x0
	s_add_u32 s16, s16, 1
	v_add3_u32 v2, v12, v6, v2
	v_sub_co_u32_e32 v6, vcc, v7, v11
	v_subb_co_u32_e32 v2, vcc, v8, v2, vcc
	s_waitcnt lgkmcnt(0)
	v_mul_lo_u32 v2, s0, v2
	v_mul_lo_u32 v7, s1, v6
	v_mad_u64_u32 v[3:4], s[0:1], s0, v6, v[3:4]
	s_addc_u32 s17, s17, 0
	s_add_u32 s6, s6, 8
	v_add3_u32 v4, v7, v4, v2
	v_mov_b32_e32 v6, s10
	v_mov_b32_e32 v7, s11
	s_addc_u32 s7, s7, 0
	v_cmp_ge_u64_e32 vcc, s[16:17], v[6:7]
	s_add_u32 s18, s18, 8
	s_addc_u32 s19, s19, 0
	s_cbranch_vccnz .LBB0_8
; %bb.7:                                ;   in Loop: Header=BB0_2 Depth=1
	v_mov_b32_e32 v7, v9
	v_mov_b32_e32 v8, v10
	s_branch .LBB0_2
.LBB0_8:
	s_lshl_b64 s[0:1], s[10:11], 3
	s_add_u32 s0, s14, s0
	s_addc_u32 s1, s15, s1
	s_load_dwordx2 s[0:1], s[0:1], 0x0
	s_mov_b32 s6, 0xaaaaaaab
	v_mul_hi_u32 v5, v1, s6
	s_waitcnt lgkmcnt(0)
	v_mul_lo_u32 v6, s0, v10
	v_mul_lo_u32 v7, s1, v9
	v_mad_u64_u32 v[2:3], s[0:1], s0, v9, v[3:4]
	s_load_dwordx2 s[0:1], s[4:5], 0x20
	s_mov_b32 s4, 0x3531ded
	v_lshrrev_b32_e32 v4, 1, v5
	v_mul_hi_u32 v5, v0, s4
	v_lshl_add_u32 v4, v4, 1, v4
	v_add3_u32 v3, v7, v3, v6
	v_sub_u32_e32 v1, v1, v4
	v_mul_u32_u24_e32 v4, 0x4d, v5
	v_mul_u32_u24_e32 v1, 0x1ce, v1
	s_waitcnt lgkmcnt(0)
	v_cmp_gt_u64_e32 vcc, s[0:1], v[9:10]
	v_sub_u32_e32 v110, v0, v4
	v_lshlrev_b64 v[56:57], 4, v[2:3]
	v_lshlrev_b32_e32 v113, 4, v1
	v_lshlrev_b32_e32 v0, 4, v110
	s_and_saveexec_b64 s[4:5], vcc
	s_cbranch_execz .LBB0_10
; %bb.9:
	v_mad_u64_u32 v[1:2], s[0:1], s2, v110, 0
	v_add_u32_e32 v5, 0x4d, v110
	v_add_u32_e32 v15, 0x9a, v110
	v_mad_u64_u32 v[2:3], s[0:1], s3, v110, v[2:3]
	v_mov_b32_e32 v3, s13
	v_add_co_u32_e64 v21, s[0:1], s12, v56
	v_addc_co_u32_e64 v22, s[0:1], v3, v57, s[0:1]
	v_mad_u64_u32 v[3:4], s[0:1], s2, v5, 0
	v_lshlrev_b64 v[1:2], 4, v[1:2]
	v_add_u32_e32 v16, 0xe7, v110
	v_add_co_u32_e64 v9, s[0:1], v21, v1
	v_mov_b32_e32 v1, v4
	v_addc_co_u32_e64 v10, s[0:1], v22, v2, s[0:1]
	v_mad_u64_u32 v[1:2], s[0:1], s3, v5, v[1:2]
	v_mad_u64_u32 v[11:12], s[0:1], s2, v15, 0
	v_mov_b32_e32 v4, v1
	v_lshlrev_b64 v[1:2], 4, v[3:4]
	v_add_u32_e32 v18, 0x134, v110
	v_add_co_u32_e64 v13, s[0:1], v21, v1
	v_addc_co_u32_e64 v14, s[0:1], v22, v2, s[0:1]
	global_load_dwordx4 v[1:4], v[9:10], off
	global_load_dwordx4 v[5:8], v[13:14], off
	v_mad_u64_u32 v[9:10], s[0:1], s2, v16, 0
	v_mad_u64_u32 v[12:13], s[0:1], s3, v15, v[12:13]
	;; [unrolled: 1-line block ×4, first 2 shown]
	v_add_u32_e32 v20, 0x181, v110
	v_mad_u64_u32 v[16:17], s[0:1], s2, v20, 0
	v_mov_b32_e32 v10, v15
	v_mad_u64_u32 v[18:19], s[0:1], s3, v18, v[10:11]
	v_mov_b32_e32 v10, v17
	v_mad_u64_u32 v[19:20], s[0:1], s3, v20, v[10:11]
	v_lshlrev_b64 v[11:12], 4, v[11:12]
	v_mov_b32_e32 v10, v13
	v_add_co_u32_e64 v25, s[0:1], v21, v11
	v_lshlrev_b64 v[9:10], 4, v[9:10]
	v_addc_co_u32_e64 v26, s[0:1], v22, v12, s[0:1]
	v_mov_b32_e32 v15, v18
	v_add_co_u32_e64 v27, s[0:1], v21, v9
	v_addc_co_u32_e64 v28, s[0:1], v22, v10, s[0:1]
	v_lshlrev_b64 v[9:10], 4, v[14:15]
	v_mov_b32_e32 v17, v19
	v_add_co_u32_e64 v29, s[0:1], v21, v9
	v_addc_co_u32_e64 v30, s[0:1], v22, v10, s[0:1]
	v_lshlrev_b64 v[9:10], 4, v[16:17]
	v_add_co_u32_e64 v31, s[0:1], v21, v9
	v_addc_co_u32_e64 v32, s[0:1], v22, v10, s[0:1]
	global_load_dwordx4 v[9:12], v[25:26], off
	global_load_dwordx4 v[13:16], v[27:28], off
	;; [unrolled: 1-line block ×4, first 2 shown]
	v_add3_u32 v25, 0, v113, v0
	s_waitcnt vmcnt(5)
	ds_write_b128 v25, v[1:4]
	s_waitcnt vmcnt(4)
	ds_write_b128 v25, v[5:8] offset:1232
	s_waitcnt vmcnt(3)
	ds_write_b128 v25, v[9:12] offset:2464
	;; [unrolled: 2-line block ×5, first 2 shown]
.LBB0_10:
	s_or_b64 exec, exec, s[4:5]
	v_add_u32_e32 v114, 0, v0
	v_add_u32_e32 v112, v114, v113
	s_waitcnt lgkmcnt(0)
	s_barrier
	ds_read_b128 v[4:7], v112 offset:6720
	ds_read_b128 v[32:35], v112 offset:672
	v_add3_u32 v111, 0, v113, v0
	ds_read_b128 v[12:15], v111
	ds_read_b128 v[44:47], v112 offset:1344
	ds_read_b128 v[8:11], v112 offset:6048
	s_waitcnt lgkmcnt(3)
	v_add_f64 v[60:61], v[34:35], -v[6:7]
	v_add_f64 v[62:63], v[32:33], -v[4:5]
	s_mov_b32 s4, 0xfd768dbf
	s_mov_b32 s5, 0xbfd207e7
	v_add_f64 v[58:59], v[32:33], v[4:5]
	s_waitcnt lgkmcnt(0)
	v_add_f64 v[68:69], v[46:47], -v[10:11]
	v_add_f64 v[86:87], v[34:35], v[6:7]
	v_add_f64 v[66:67], v[44:45], -v[8:9]
	v_mul_f64 v[48:49], v[60:61], s[4:5]
	v_mul_f64 v[104:105], v[62:63], s[4:5]
	s_mov_b32 s6, 0x9bcd5057
	s_mov_b32 s20, 0xf8bb580b
	;; [unrolled: 1-line block ×4, first 2 shown]
	ds_read_b128 v[40:43], v112 offset:2016
	ds_read_b128 v[16:19], v112 offset:5376
	v_add_f64 v[64:65], v[44:45], v[8:9]
	v_fma_f64 v[0:1], v[58:59], s[6:7], v[48:49]
	v_mul_f64 v[50:51], v[68:69], s[20:21]
	v_fma_f64 v[2:3], v[86:87], s[6:7], -v[104:105]
	v_add_f64 v[84:85], v[46:47], v[10:11]
	v_mul_f64 v[52:53], v[66:67], s[20:21]
	s_waitcnt lgkmcnt(0)
	v_add_f64 v[70:71], v[42:43], -v[18:19]
	s_mov_b32 s10, 0x8764f0ba
	s_mov_b32 s11, 0x3feaeb8c
	v_add_f64 v[0:1], v[12:13], v[0:1]
	v_fma_f64 v[20:21], v[64:65], s[10:11], v[50:51]
	v_add_f64 v[2:3], v[14:15], v[2:3]
	s_mov_b32 s16, 0xbb3a28a1
	v_fma_f64 v[22:23], v[84:85], s[10:11], -v[52:53]
	s_mov_b32 s17, 0xbfe82f19
	v_add_f64 v[74:75], v[40:41], -v[16:17]
	v_add_f64 v[72:73], v[40:41], v[16:17]
	v_mul_f64 v[54:55], v[70:71], s[16:17]
	v_add_f64 v[0:1], v[20:21], v[0:1]
	s_mov_b32 s18, 0x7f775887
	s_mov_b32 s19, 0xbfe4f49e
	v_add_f64 v[2:3], v[22:23], v[2:3]
	ds_read_b128 v[20:23], v112 offset:4704
	ds_read_b128 v[36:39], v112 offset:2688
	v_add_f64 v[90:91], v[42:43], v[18:19]
	v_mul_f64 v[102:103], v[74:75], s[16:17]
	v_fma_f64 v[80:81], v[72:73], s[18:19], v[54:55]
	ds_read_b128 v[24:27], v112 offset:3360
	ds_read_b128 v[28:31], v112 offset:4032
	s_waitcnt lgkmcnt(2)
	v_add_f64 v[88:89], v[38:39], -v[22:23]
	v_add_f64 v[78:79], v[36:37], -v[20:21]
	s_mov_b32 s28, 0x8eee2c13
	s_mov_b32 s29, 0x3fed1bb4
	v_add_f64 v[76:77], v[36:37], v[20:21]
	v_fma_f64 v[82:83], v[90:91], s[18:19], -v[102:103]
	v_add_f64 v[94:95], v[38:39], v[22:23]
	v_add_f64 v[0:1], v[80:81], v[0:1]
	v_mul_f64 v[106:107], v[88:89], s[28:29]
	v_mul_f64 v[108:109], v[78:79], s[28:29]
	s_waitcnt lgkmcnt(0)
	v_add_f64 v[92:93], v[26:27], -v[30:31]
	v_add_f64 v[80:81], v[24:25], -v[28:29]
	s_mov_b32 s22, 0xd9c712b6
	s_mov_b32 s24, 0x43842ef
	;; [unrolled: 1-line block ×4, first 2 shown]
	v_add_f64 v[2:3], v[82:83], v[2:3]
	v_fma_f64 v[115:116], v[76:77], s[22:23], v[106:107]
	v_fma_f64 v[117:118], v[94:95], s[22:23], -v[108:109]
	v_add_f64 v[82:83], v[24:25], v[28:29]
	v_mul_f64 v[98:99], v[92:93], s[24:25]
	v_add_f64 v[96:97], v[26:27], v[30:31]
	v_mul_f64 v[100:101], v[80:81], s[24:25]
	s_mov_b32 s26, 0x640f44db
	s_mov_b32 s27, 0xbfc2375f
	v_add_f64 v[0:1], v[115:116], v[0:1]
	v_add_f64 v[2:3], v[117:118], v[2:3]
	v_cmp_gt_u32_e64 s[0:1], 42, v110
	v_fma_f64 v[115:116], v[82:83], s[26:27], v[98:99]
	v_fma_f64 v[117:118], v[96:97], s[26:27], -v[100:101]
	s_barrier
	v_add_f64 v[0:1], v[115:116], v[0:1]
	v_add_f64 v[2:3], v[117:118], v[2:3]
	s_and_saveexec_b64 s[14:15], s[0:1]
	s_cbranch_execz .LBB0_12
; %bb.11:
	v_mul_f64 v[115:116], v[86:87], s[6:7]
	v_mul_f64 v[117:118], v[58:59], s[6:7]
	;; [unrolled: 1-line block ×8, first 2 shown]
	v_add_f64 v[104:105], v[104:105], v[115:116]
	v_add_f64 v[48:49], v[117:118], -v[48:49]
	v_add_f64 v[52:53], v[52:53], v[123:124]
	v_mul_f64 v[115:116], v[94:95], s[22:23]
	v_add_f64 v[50:51], v[121:122], -v[50:51]
	v_add_f64 v[102:103], v[102:103], v[119:120]
	v_add_f64 v[54:55], v[125:126], -v[54:55]
	s_mov_b32 s35, 0x3fe82f19
	v_add_f64 v[104:105], v[14:15], v[104:105]
	v_add_f64 v[48:49], v[12:13], v[48:49]
	s_mov_b32 s34, s16
	v_add_f64 v[108:109], v[108:109], v[115:116]
	v_mul_f64 v[117:118], v[82:83], s[26:27]
	v_mul_f64 v[119:120], v[84:85], s[26:27]
	v_add_f64 v[106:107], v[127:128], -v[106:107]
	v_add_f64 v[100:101], v[100:101], v[129:130]
	v_add_f64 v[52:53], v[52:53], v[104:105]
	;; [unrolled: 1-line block ×3, first 2 shown]
	v_mul_f64 v[50:51], v[86:87], s[18:19]
	s_mov_b32 s37, 0x3fefac9e
	s_mov_b32 s36, s24
	v_mul_f64 v[104:105], v[90:91], s[10:11]
	v_add_f64 v[98:99], v[117:118], -v[98:99]
	v_fma_f64 v[115:116], v[66:67], s[24:25], v[119:120]
	v_add_f64 v[52:53], v[102:103], v[52:53]
	v_add_f64 v[48:49], v[54:55], v[48:49]
	v_mul_f64 v[54:55], v[60:61], s[16:17]
	v_fma_f64 v[102:103], v[62:63], s[34:35], v[50:51]
	v_fma_f64 v[123:124], v[62:63], s[16:17], v[50:51]
	s_mov_b32 s39, 0xbfe14ced
	s_mov_b32 s38, s20
	v_mul_f64 v[121:122], v[94:95], s[6:7]
	v_add_f64 v[52:53], v[108:109], v[52:53]
	v_add_f64 v[48:49], v[106:107], v[48:49]
	v_mul_f64 v[106:107], v[68:69], s[36:37]
	v_fma_f64 v[117:118], v[58:59], s[18:19], v[54:55]
	v_fma_f64 v[54:55], v[58:59], s[18:19], -v[54:55]
	s_mov_b32 s1, 0x3fd207e7
	s_mov_b32 s0, s4
	v_mul_f64 v[131:132], v[96:97], s[22:23]
	v_add_f64 v[50:51], v[100:101], v[52:53]
	v_add_f64 v[52:53], v[14:15], v[102:103]
	;; [unrolled: 1-line block ×3, first 2 shown]
	v_mul_f64 v[98:99], v[70:71], s[38:39]
	v_fma_f64 v[100:101], v[64:65], s[26:27], v[106:107]
	v_add_f64 v[102:103], v[12:13], v[117:118]
	v_fma_f64 v[117:118], v[66:67], s[36:37], v[119:120]
	v_add_f64 v[119:120], v[14:15], v[123:124]
	;; [unrolled: 2-line block ×3, first 2 shown]
	v_mul_f64 v[115:116], v[88:89], s[4:5]
	v_fma_f64 v[104:105], v[74:75], s[38:39], v[104:105]
	v_fma_f64 v[106:107], v[64:65], s[26:27], -v[106:107]
	v_add_f64 v[100:101], v[100:101], v[102:103]
	v_fma_f64 v[102:103], v[72:73], s[10:11], v[98:99]
	v_add_f64 v[117:118], v[117:118], v[119:120]
	v_add_f64 v[54:55], v[12:13], v[54:55]
	;; [unrolled: 1-line block ×3, first 2 shown]
	v_mul_f64 v[123:124], v[86:87], s[26:27]
	v_fma_f64 v[119:120], v[78:79], s[0:1], v[121:122]
	v_fma_f64 v[121:122], v[78:79], s[4:5], v[121:122]
	v_fma_f64 v[98:99], v[72:73], s[10:11], -v[98:99]
	v_add_f64 v[100:101], v[102:103], v[100:101]
	v_fma_f64 v[102:103], v[76:77], s[6:7], v[115:116]
	v_add_f64 v[104:105], v[104:105], v[117:118]
	v_add_f64 v[54:55], v[106:107], v[54:55]
	v_mul_f64 v[106:107], v[84:85], s[6:7]
	v_fma_f64 v[117:118], v[62:63], s[36:37], v[123:124]
	s_mov_b32 s31, 0xbfed1bb4
	s_mov_b32 s30, s28
	v_fma_f64 v[108:109], v[80:81], s[30:31], v[131:132]
	v_add_f64 v[52:53], v[119:120], v[52:53]
	v_mul_f64 v[119:120], v[92:93], s[28:29]
	v_add_f64 v[100:101], v[102:103], v[100:101]
	v_add_f64 v[102:103], v[121:122], v[104:105]
	v_fma_f64 v[104:105], v[76:77], s[6:7], -v[115:116]
	v_add_f64 v[98:99], v[98:99], v[54:55]
	v_fma_f64 v[115:116], v[66:67], s[4:5], v[106:107]
	v_mul_f64 v[121:122], v[60:61], s[24:25]
	v_add_f64 v[117:118], v[14:15], v[117:118]
	v_mul_f64 v[125:126], v[90:91], s[22:23]
	v_fma_f64 v[127:128], v[82:83], s[22:23], v[119:120]
	v_add_f64 v[54:55], v[108:109], v[52:53]
	v_fma_f64 v[108:109], v[80:81], s[28:29], v[131:132]
	v_mul_f64 v[129:130], v[68:69], s[0:1]
	v_add_f64 v[98:99], v[104:105], v[98:99]
	v_fma_f64 v[131:132], v[58:59], s[26:27], v[121:122]
	v_mul_f64 v[104:105], v[94:95], s[10:11]
	v_add_f64 v[115:116], v[115:116], v[117:118]
	v_fma_f64 v[117:118], v[62:63], s[24:25], v[123:124]
	v_fma_f64 v[123:124], v[74:75], s[30:31], v[125:126]
	v_fma_f64 v[119:120], v[82:83], s[22:23], -v[119:120]
	v_add_f64 v[52:53], v[127:128], v[100:101]
	v_fma_f64 v[127:128], v[64:65], s[6:7], v[129:130]
	v_add_f64 v[131:132], v[12:13], v[131:132]
	v_add_f64 v[100:101], v[108:109], v[102:103]
	v_mul_f64 v[102:103], v[70:71], s[28:29]
	v_fma_f64 v[106:107], v[66:67], s[0:1], v[106:107]
	v_add_f64 v[108:109], v[14:15], v[117:118]
	v_fma_f64 v[117:118], v[78:79], s[20:21], v[104:105]
	v_add_f64 v[115:116], v[123:124], v[115:116]
	v_fma_f64 v[121:122], v[58:59], s[26:27], -v[121:122]
	v_add_f64 v[98:99], v[119:120], v[98:99]
	v_add_f64 v[119:120], v[127:128], v[131:132]
	v_fma_f64 v[123:124], v[72:73], s[22:23], v[102:103]
	v_mul_f64 v[127:128], v[88:89], s[38:39]
	v_add_f64 v[106:107], v[106:107], v[108:109]
	v_fma_f64 v[125:126], v[74:75], s[28:29], v[125:126]
	v_add_f64 v[115:116], v[117:118], v[115:116]
	v_fma_f64 v[117:118], v[64:65], s[6:7], -v[129:130]
	v_add_f64 v[121:122], v[12:13], v[121:122]
	v_fma_f64 v[102:103], v[72:73], s[22:23], -v[102:103]
	v_add_f64 v[119:120], v[123:124], v[119:120]
	v_fma_f64 v[123:124], v[76:77], s[10:11], v[127:128]
	v_fma_f64 v[104:105], v[78:79], s[38:39], v[104:105]
	v_add_f64 v[106:107], v[125:126], v[106:107]
	v_mul_f64 v[125:126], v[96:97], s[18:19]
	v_fma_f64 v[127:128], v[76:77], s[10:11], -v[127:128]
	v_add_f64 v[117:118], v[117:118], v[121:122]
	v_mul_f64 v[121:122], v[92:93], s[16:17]
	v_mul_f64 v[108:109], v[86:87], s[22:23]
	v_add_f64 v[119:120], v[123:124], v[119:120]
	v_mul_f64 v[129:130], v[84:85], s[18:19]
	v_add_f64 v[106:107], v[104:105], v[106:107]
	v_fma_f64 v[123:124], v[80:81], s[34:35], v[125:126]
	v_mul_f64 v[133:134], v[90:91], s[6:7]
	v_add_f64 v[102:103], v[102:103], v[117:118]
	v_fma_f64 v[117:118], v[82:83], s[18:19], v[121:122]
	v_fma_f64 v[131:132], v[62:63], s[28:29], v[108:109]
	;; [unrolled: 1-line block ×3, first 2 shown]
	v_fma_f64 v[121:122], v[82:83], s[18:19], -v[121:122]
	v_fma_f64 v[135:136], v[66:67], s[34:35], v[129:130]
	v_add_f64 v[104:105], v[123:124], v[115:116]
	v_fma_f64 v[115:116], v[80:81], s[16:17], v[125:126]
	v_add_f64 v[123:124], v[127:128], v[102:103]
	v_mul_f64 v[125:126], v[60:61], s[30:31]
	v_add_f64 v[102:103], v[117:118], v[119:120]
	v_add_f64 v[117:118], v[14:15], v[34:35]
	;; [unrolled: 1-line block ×6, first 2 shown]
	v_mul_f64 v[106:107], v[68:69], s[16:17]
	v_fma_f64 v[115:116], v[58:59], s[22:23], v[125:126]
	v_add_f64 v[32:33], v[121:122], v[123:124]
	v_add_f64 v[46:47], v[117:118], v[46:47]
	v_add_f64 v[44:45], v[119:120], v[44:45]
	v_fma_f64 v[117:118], v[58:59], s[22:23], -v[125:126]
	v_fma_f64 v[125:126], v[66:67], s[16:17], v[129:130]
	v_mul_f64 v[123:124], v[70:71], s[0:1]
	v_fma_f64 v[119:120], v[64:65], s[18:19], v[106:107]
	v_add_f64 v[115:116], v[12:13], v[115:116]
	v_mul_f64 v[86:87], v[86:87], s[10:11]
	v_add_f64 v[42:43], v[46:47], v[42:43]
	v_fma_f64 v[46:47], v[64:65], s[18:19], -v[106:107]
	v_add_f64 v[106:107], v[12:13], v[117:118]
	v_add_f64 v[117:118], v[44:45], v[40:41]
	;; [unrolled: 1-line block ×3, first 2 shown]
	v_mul_f64 v[60:61], v[60:61], s[38:39]
	v_add_f64 v[40:41], v[119:120], v[115:116]
	v_fma_f64 v[115:116], v[74:75], s[0:1], v[133:134]
	v_add_f64 v[38:39], v[42:43], v[38:39]
	v_add_f64 v[131:132], v[135:136], v[131:132]
	v_mul_f64 v[135:136], v[94:95], s[26:27]
	v_add_f64 v[36:37], v[117:118], v[36:37]
	v_fma_f64 v[44:45], v[72:73], s[6:7], v[123:124]
	v_mul_f64 v[84:85], v[84:85], s[22:23]
	v_mul_f64 v[68:69], v[68:69], s[30:31]
	v_add_f64 v[108:109], v[115:116], v[108:109]
	v_add_f64 v[26:27], v[38:39], v[26:27]
	v_fma_f64 v[115:116], v[62:63], s[20:21], v[86:87]
	v_fma_f64 v[62:63], v[62:63], s[38:39], v[86:87]
	v_add_f64 v[24:25], v[36:37], v[24:25]
	v_fma_f64 v[36:37], v[58:59], s[10:11], -v[60:61]
	v_add_f64 v[40:41], v[44:45], v[40:41]
	v_fma_f64 v[44:45], v[78:79], s[36:37], v[135:136]
	v_fma_f64 v[58:59], v[58:59], s[10:11], v[60:61]
	v_add_f64 v[26:27], v[26:27], v[30:31]
	v_add_f64 v[115:116], v[14:15], v[115:116]
	v_mul_f64 v[90:91], v[90:91], s[26:27]
	v_add_f64 v[24:25], v[24:25], v[28:29]
	v_mul_f64 v[38:39], v[70:71], s[24:25]
	v_fma_f64 v[60:61], v[66:67], s[30:31], v[84:85]
	v_add_f64 v[14:15], v[14:15], v[62:63]
	v_fma_f64 v[62:63], v[64:65], s[22:23], -v[68:69]
	v_add_f64 v[28:29], v[12:13], v[36:37]
	v_fma_f64 v[137:138], v[74:75], s[4:5], v[133:134]
	v_add_f64 v[44:45], v[44:45], v[108:109]
	v_fma_f64 v[108:109], v[66:67], s[28:29], v[84:85]
	v_fma_f64 v[30:31], v[64:65], s[22:23], v[68:69]
	v_add_f64 v[12:13], v[12:13], v[58:59]
	v_add_f64 v[22:23], v[26:27], v[22:23]
	;; [unrolled: 1-line block ×3, first 2 shown]
	v_mul_f64 v[119:120], v[88:89], s[36:37]
	v_add_f64 v[46:47], v[46:47], v[106:107]
	v_fma_f64 v[123:124], v[72:73], s[6:7], -v[123:124]
	v_mul_f64 v[94:95], v[94:95], s[18:19]
	v_mul_f64 v[88:89], v[88:89], s[16:17]
	v_fma_f64 v[36:37], v[74:75], s[24:25], v[90:91]
	v_add_f64 v[14:15], v[60:61], v[14:15]
	v_fma_f64 v[58:59], v[72:73], s[26:27], -v[38:39]
	v_add_f64 v[24:25], v[62:63], v[28:29]
	v_add_f64 v[127:128], v[137:138], v[131:132]
	v_fma_f64 v[131:132], v[78:79], s[24:25], v[135:136]
	v_mul_f64 v[106:107], v[96:97], s[10:11]
	v_add_f64 v[108:109], v[108:109], v[115:116]
	v_fma_f64 v[115:116], v[74:75], s[36:37], v[90:91]
	v_fma_f64 v[26:27], v[72:73], s[26:27], v[38:39]
	v_add_f64 v[12:13], v[30:31], v[12:13]
	v_add_f64 v[18:19], v[22:23], v[18:19]
	;; [unrolled: 1-line block ×4, first 2 shown]
	v_mul_f64 v[123:124], v[92:93], s[20:21]
	v_mul_f64 v[96:97], v[96:97], s[6:7]
	;; [unrolled: 1-line block ×3, first 2 shown]
	v_fma_f64 v[28:29], v[78:79], s[16:17], v[94:95]
	v_add_f64 v[14:15], v[36:37], v[14:15]
	v_fma_f64 v[30:31], v[76:77], s[18:19], -v[88:89]
	v_add_f64 v[20:21], v[58:59], v[24:25]
	v_add_f64 v[121:122], v[131:132], v[127:128]
	v_fma_f64 v[125:126], v[76:77], s[26:27], v[119:120]
	v_fma_f64 v[127:128], v[80:81], s[38:39], v[106:107]
	v_fma_f64 v[119:120], v[76:77], s[26:27], -v[119:120]
	v_fma_f64 v[106:107], v[80:81], s[20:21], v[106:107]
	v_fma_f64 v[42:43], v[78:79], s[34:35], v[94:95]
	v_add_f64 v[108:109], v[115:116], v[108:109]
	v_fma_f64 v[22:23], v[76:77], s[18:19], v[88:89]
	v_add_f64 v[12:13], v[26:27], v[12:13]
	v_add_f64 v[10:11], v[18:19], v[10:11]
	;; [unrolled: 1-line block ×3, first 2 shown]
	v_fma_f64 v[24:25], v[80:81], s[4:5], v[96:97]
	v_add_f64 v[14:15], v[28:29], v[14:15]
	v_fma_f64 v[26:27], v[82:83], s[6:7], -v[92:93]
	v_add_f64 v[18:19], v[30:31], v[20:21]
	v_add_f64 v[46:47], v[119:120], v[46:47]
	;; [unrolled: 1-line block ×3, first 2 shown]
	v_fma_f64 v[106:107], v[82:83], s[10:11], -v[123:124]
	v_add_f64 v[125:126], v[125:126], v[40:41]
	v_fma_f64 v[119:120], v[82:83], s[10:11], v[123:124]
	v_fma_f64 v[20:21], v[80:81], s[0:1], v[96:97]
	v_add_f64 v[28:29], v[42:43], v[108:109]
	v_fma_f64 v[30:31], v[82:83], s[6:7], v[92:93]
	v_add_f64 v[22:23], v[22:23], v[12:13]
	v_add_f64 v[12:13], v[10:11], v[6:7]
	;; [unrolled: 1-line block ×6, first 2 shown]
	v_mul_u32_u24_e32 v4, 0xa0, v110
	v_add3_u32 v4, v114, v4, v113
	v_add_f64 v[40:41], v[127:128], v[121:122]
	v_add_f64 v[38:39], v[119:120], v[125:126]
	;; [unrolled: 1-line block ×4, first 2 shown]
	ds_write_b128 v4, v[10:13]
	ds_write_b128 v4, v[6:9] offset:16
	ds_write_b128 v4, v[42:45] offset:32
	;; [unrolled: 1-line block ×10, first 2 shown]
.LBB0_12:
	s_or_b64 exec, exec, s[14:15]
	s_movk_i32 s0, 0x75
	v_mul_lo_u16_sdwa v4, v110, s0 dst_sel:DWORD dst_unused:UNUSED_PAD src0_sel:BYTE_0 src1_sel:DWORD
	v_sub_u16_sdwa v5, v110, v4 dst_sel:DWORD dst_unused:UNUSED_PAD src0_sel:DWORD src1_sel:BYTE_1
	v_lshrrev_b16_e32 v5, 1, v5
	v_and_b32_e32 v5, 0x7f, v5
	v_add_u16_sdwa v4, v5, v4 dst_sel:DWORD dst_unused:UNUSED_PAD src0_sel:DWORD src1_sel:BYTE_1
	v_lshrrev_b16_e32 v48, 3, v4
	v_mul_lo_u16_e32 v4, 11, v48
	v_sub_u16_e32 v49, v110, v4
	v_mov_b32_e32 v4, 5
	v_mul_u32_u24_sdwa v4, v49, v4 dst_sel:DWORD dst_unused:UNUSED_PAD src0_sel:BYTE_0 src1_sel:DWORD
	v_lshlrev_b32_e32 v24, 4, v4
	s_waitcnt lgkmcnt(0)
	s_barrier
	global_load_dwordx4 v[4:7], v24, s[8:9]
	global_load_dwordx4 v[8:11], v24, s[8:9] offset:16
	global_load_dwordx4 v[12:15], v24, s[8:9] offset:32
	;; [unrolled: 1-line block ×4, first 2 shown]
	ds_read_b128 v[24:27], v111
	ds_read_b128 v[28:31], v112 offset:1232
	ds_read_b128 v[32:35], v112 offset:2464
	;; [unrolled: 1-line block ×5, first 2 shown]
	s_movk_i32 s6, 0x420
	v_mov_b32_e32 v50, 4
	v_mad_u32_u24 v48, v48, s6, 0
	v_lshlrev_b32_sdwa v49, v50, v49 dst_sel:DWORD dst_unused:UNUSED_PAD src0_sel:DWORD src1_sel:BYTE_0
	v_add3_u32 v60, v48, v49, v113
	s_mov_b32 s0, 0xe8584caa
	s_mov_b32 s1, 0x3febb67a
	;; [unrolled: 1-line block ×4, first 2 shown]
	s_movk_i32 s7, 0x42
	s_waitcnt vmcnt(0) lgkmcnt(0)
	s_barrier
	v_mul_f64 v[48:49], v[30:31], v[6:7]
	v_mul_f64 v[6:7], v[28:29], v[6:7]
	;; [unrolled: 1-line block ×10, first 2 shown]
	v_fma_f64 v[36:37], v[36:37], v[12:13], -v[52:53]
	v_fma_f64 v[12:13], v[38:39], v[12:13], v[14:15]
	v_fma_f64 v[14:15], v[46:47], v[16:17], v[54:55]
	v_fma_f64 v[16:17], v[44:45], v[16:17], -v[18:19]
	v_fma_f64 v[32:33], v[32:33], v[8:9], -v[50:51]
	v_fma_f64 v[8:9], v[34:35], v[8:9], v[10:11]
	v_fma_f64 v[10:11], v[40:41], v[20:21], -v[58:59]
	v_fma_f64 v[18:19], v[42:43], v[20:21], v[22:23]
	;; [unrolled: 2-line block ×3, first 2 shown]
	v_add_f64 v[6:7], v[12:13], v[14:15]
	v_add_f64 v[22:23], v[36:37], v[16:17]
	;; [unrolled: 1-line block ×3, first 2 shown]
	v_add_f64 v[40:41], v[12:13], -v[14:15]
	v_add_f64 v[30:31], v[32:33], v[10:11]
	v_add_f64 v[42:43], v[36:37], -v[16:17]
	v_add_f64 v[34:35], v[8:9], -v[18:19]
	v_add_f64 v[38:39], v[26:27], v[8:9]
	v_fma_f64 v[6:7], v[6:7], -0.5, v[4:5]
	v_fma_f64 v[22:23], v[22:23], -0.5, v[20:21]
	v_add_f64 v[8:9], v[8:9], v[18:19]
	v_add_f64 v[32:33], v[32:33], -v[10:11]
	v_add_f64 v[20:21], v[20:21], v[36:37]
	v_add_f64 v[4:5], v[4:5], v[12:13]
	v_add_f64 v[10:11], v[28:29], v[10:11]
	v_fma_f64 v[12:13], v[30:31], -0.5, v[24:25]
	v_fma_f64 v[24:25], v[42:43], s[4:5], v[6:7]
	v_fma_f64 v[28:29], v[40:41], s[4:5], v[22:23]
	v_fma_f64 v[22:23], v[40:41], s[0:1], v[22:23]
	v_fma_f64 v[6:7], v[42:43], s[0:1], v[6:7]
	v_fma_f64 v[8:9], v[8:9], -0.5, v[26:27]
	v_add_f64 v[16:17], v[20:21], v[16:17]
	v_add_f64 v[14:15], v[4:5], v[14:15]
	;; [unrolled: 1-line block ×3, first 2 shown]
	v_mul_f64 v[4:5], v[24:25], s[0:1]
	v_mul_f64 v[20:21], v[28:29], -0.5
	v_mul_f64 v[26:27], v[22:23], s[4:5]
	v_mul_f64 v[30:31], v[6:7], -0.5
	v_fma_f64 v[36:37], v[34:35], s[0:1], v[12:13]
	v_fma_f64 v[34:35], v[34:35], s[4:5], v[12:13]
	;; [unrolled: 1-line block ×4, first 2 shown]
	v_fma_f64 v[22:23], v[22:23], 0.5, v[4:5]
	v_fma_f64 v[40:41], v[6:7], s[0:1], v[20:21]
	v_fma_f64 v[26:27], v[24:25], 0.5, v[26:27]
	v_fma_f64 v[28:29], v[28:29], s[4:5], v[30:31]
	v_add_f64 v[4:5], v[10:11], v[16:17]
	v_add_f64 v[6:7], v[18:19], v[14:15]
	v_add_f64 v[16:17], v[10:11], -v[16:17]
	v_add_f64 v[18:19], v[18:19], -v[14:15]
	v_add_f64 v[8:9], v[36:37], v[22:23]
	v_add_f64 v[12:13], v[34:35], v[40:41]
	;; [unrolled: 1-line block ×4, first 2 shown]
	v_add_f64 v[20:21], v[36:37], -v[22:23]
	v_add_f64 v[24:25], v[34:35], -v[40:41]
	;; [unrolled: 1-line block ×4, first 2 shown]
	v_cmp_gt_u32_e64 s[0:1], s7, v110
	ds_write_b128 v60, v[4:7]
	ds_write_b128 v60, v[16:19] offset:528
	ds_write_b128 v60, v[8:11] offset:176
	;; [unrolled: 1-line block ×5, first 2 shown]
	s_waitcnt lgkmcnt(0)
	s_barrier
	s_and_saveexec_b64 s[4:5], s[0:1]
	s_cbranch_execz .LBB0_14
; %bb.13:
	ds_read_b128 v[4:7], v111
	ds_read_b128 v[8:11], v112 offset:1056
	ds_read_b128 v[12:15], v112 offset:2112
	;; [unrolled: 1-line block ×6, first 2 shown]
.LBB0_14:
	s_or_b64 exec, exec, s[4:5]
	s_waitcnt lgkmcnt(0)
	s_barrier
	s_and_saveexec_b64 s[4:5], s[0:1]
	s_cbranch_execz .LBB0_16
; %bb.15:
	v_add_u32_e32 v28, 0xffffffbe, v110
	v_cndmask_b32_e64 v28, v28, v110, s[0:1]
	v_mul_i32_i24_e32 v28, 6, v28
	v_mov_b32_e32 v29, 0
	v_lshlrev_b64 v[28:29], 4, v[28:29]
	v_mov_b32_e32 v30, s9
	v_add_co_u32_e64 v52, s[0:1], s8, v28
	v_addc_co_u32_e64 v53, s[0:1], v30, v29, s[0:1]
	global_load_dwordx4 v[28:31], v[52:53], off offset:928
	global_load_dwordx4 v[32:35], v[52:53], off offset:912
	;; [unrolled: 1-line block ×6, first 2 shown]
	s_mov_b32 s16, 0x37e14327
	s_mov_b32 s8, 0xe976ee23
	s_mov_b32 s14, 0x36b3c0b5
	s_mov_b32 s17, 0x3fe948f6
	s_mov_b32 s9, 0xbfe11646
	s_mov_b32 s15, 0x3fac98ee
	s_mov_b32 s18, 0x429ad128
	s_mov_b32 s19, 0x3febfeb5
	s_mov_b32 s10, 0xaaaaaaaa
	s_mov_b32 s21, 0xbfe77f67
	s_mov_b32 s20, 0x5476071b
	s_mov_b32 s7, 0x3fd5d0dc
	s_mov_b32 s6, 0xb247c609
	s_mov_b32 s11, 0xbff2aaaa
	s_mov_b32 s0, 0x37c3f68c
	s_mov_b32 s1, 0x3fdc38aa
	s_waitcnt vmcnt(5)
	v_mul_f64 v[52:53], v[22:23], v[30:31]
	s_waitcnt vmcnt(4)
	v_mul_f64 v[54:55], v[18:19], v[34:35]
	;; [unrolled: 2-line block ×6, first 2 shown]
	v_mul_f64 v[38:39], v[12:13], v[38:39]
	v_mul_f64 v[42:43], v[24:25], v[42:43]
	;; [unrolled: 1-line block ×6, first 2 shown]
	v_fma_f64 v[12:13], v[12:13], v[36:37], -v[58:59]
	v_fma_f64 v[24:25], v[24:25], v[40:41], -v[60:61]
	;; [unrolled: 1-line block ×4, first 2 shown]
	v_fma_f64 v[14:15], v[14:15], v[36:37], v[38:39]
	v_fma_f64 v[26:27], v[26:27], v[40:41], v[42:43]
	;; [unrolled: 1-line block ×4, first 2 shown]
	v_fma_f64 v[20:21], v[20:21], v[28:29], -v[52:53]
	v_fma_f64 v[16:17], v[16:17], v[32:33], -v[54:55]
	v_fma_f64 v[18:19], v[18:19], v[32:33], v[34:35]
	v_fma_f64 v[22:23], v[22:23], v[28:29], v[30:31]
	v_add_f64 v[30:31], v[12:13], -v[24:25]
	v_add_f64 v[32:33], v[8:9], -v[0:1]
	v_add_f64 v[36:37], v[14:15], v[26:27]
	v_add_f64 v[38:39], v[10:11], v[2:3]
	;; [unrolled: 1-line block ×4, first 2 shown]
	v_add_f64 v[28:29], v[20:21], -v[16:17]
	v_add_f64 v[34:35], v[18:19], v[22:23]
	v_add_f64 v[16:17], v[16:17], v[20:21]
	v_add_f64 v[8:9], v[22:23], -v[18:19]
	v_add_f64 v[14:15], v[14:15], -v[26:27]
	v_add_f64 v[26:27], v[36:37], v[38:39]
	v_add_f64 v[2:3], v[10:11], -v[2:3]
	v_add_f64 v[42:43], v[12:13], v[0:1]
	v_add_f64 v[10:11], v[28:29], v[30:31]
	v_add_f64 v[24:25], v[38:39], -v[34:35]
	v_add_f64 v[40:41], v[0:1], -v[16:17]
	;; [unrolled: 1-line block ×6, first 2 shown]
	v_add_f64 v[44:45], v[8:9], v[14:15]
	v_add_f64 v[46:47], v[8:9], -v[14:15]
	v_add_f64 v[26:27], v[34:35], v[26:27]
	v_add_f64 v[16:17], v[16:17], v[42:43]
	v_add_f64 v[30:31], v[30:31], -v[32:33]
	v_add_f64 v[14:15], v[14:15], -v[2:3]
	;; [unrolled: 1-line block ×4, first 2 shown]
	v_mul_f64 v[24:25], v[24:25], s[16:17]
	v_mul_f64 v[38:39], v[40:41], s[16:17]
	v_add_f64 v[8:9], v[2:3], -v[8:9]
	v_add_f64 v[10:11], v[10:11], v[32:33]
	v_mul_f64 v[18:19], v[18:19], s[8:9]
	v_mul_f64 v[32:33], v[22:23], s[14:15]
	v_add_f64 v[40:41], v[44:45], v[2:3]
	v_mul_f64 v[42:43], v[46:47], s[8:9]
	v_add_f64 v[2:3], v[6:7], v[26:27]
	v_add_f64 v[0:1], v[4:5], v[16:17]
	v_mul_f64 v[44:45], v[30:31], s[18:19]
	v_mul_f64 v[46:47], v[14:15], s[18:19]
	;; [unrolled: 1-line block ×3, first 2 shown]
	v_fma_f64 v[22:23], v[22:23], s[14:15], v[24:25]
	v_fma_f64 v[6:7], v[28:29], s[14:15], v[38:39]
	v_fma_f64 v[24:25], v[36:37], s[20:21], -v[24:25]
	v_fma_f64 v[28:29], v[12:13], s[20:21], -v[38:39]
	s_mov_b32 s21, 0x3fe77f67
	v_fma_f64 v[48:49], v[20:21], s[6:7], v[18:19]
	v_fma_f64 v[4:5], v[8:9], s[6:7], v[42:43]
	s_mov_b32 s7, 0xbfd5d0dc
	v_fma_f64 v[18:19], v[30:31], s[18:19], -v[18:19]
	v_fma_f64 v[26:27], v[26:27], s[10:11], v[2:3]
	v_fma_f64 v[30:31], v[36:37], s[20:21], -v[32:33]
	v_fma_f64 v[16:17], v[16:17], s[10:11], v[0:1]
	v_fma_f64 v[20:21], v[20:21], s[6:7], -v[44:45]
	v_fma_f64 v[8:9], v[8:9], s[6:7], -v[46:47]
	;; [unrolled: 1-line block ×4, first 2 shown]
	v_fma_f64 v[32:33], v[10:11], s[0:1], v[48:49]
	v_fma_f64 v[4:5], v[40:41], s[0:1], v[4:5]
	;; [unrolled: 1-line block ×3, first 2 shown]
	v_add_f64 v[34:35], v[22:23], v[26:27]
	v_add_f64 v[22:23], v[24:25], v[26:27]
	;; [unrolled: 1-line block ×4, first 2 shown]
	v_fma_f64 v[20:21], v[10:11], s[0:1], v[20:21]
	v_fma_f64 v[8:9], v[40:41], s[0:1], v[8:9]
	v_add_f64 v[28:29], v[28:29], v[16:17]
	v_fma_f64 v[30:31], v[40:41], s[0:1], v[14:15]
	v_add_f64 v[12:13], v[12:13], v[16:17]
	v_add_f64 v[26:27], v[34:35], -v[32:33]
	v_add_f64 v[14:15], v[24:25], -v[18:19]
	v_add_f64 v[18:19], v[18:19], v[24:25]
	v_add_f64 v[24:25], v[4:5], v[36:37]
	;; [unrolled: 1-line block ×3, first 2 shown]
	v_add_f64 v[22:23], v[22:23], -v[20:21]
	v_add_f64 v[20:21], v[8:9], v[28:29]
	v_add_f64 v[16:17], v[12:13], -v[30:31]
	v_add_f64 v[12:13], v[30:31], v[12:13]
	;; [unrolled: 2-line block ×3, first 2 shown]
	v_add_f64 v[4:5], v[36:37], -v[4:5]
	ds_write_b128 v111, v[0:3]
	ds_write_b128 v112, v[24:27] offset:1056
	ds_write_b128 v112, v[20:23] offset:2112
	;; [unrolled: 1-line block ×6, first 2 shown]
.LBB0_16:
	s_or_b64 exec, exec, s[4:5]
	s_waitcnt lgkmcnt(0)
	s_barrier
	s_and_saveexec_b64 s[0:1], vcc
	s_cbranch_execz .LBB0_18
; %bb.17:
	v_mad_u64_u32 v[4:5], s[0:1], s2, v110, 0
	v_add_u32_e32 v7, 0x4d, v110
	v_mad_u64_u32 v[8:9], s[0:1], s2, v7, 0
	v_mov_b32_e32 v0, v5
	v_mad_u64_u32 v[5:6], s[0:1], s3, v110, v[0:1]
	ds_read_b128 v[0:3], v111
	v_mov_b32_e32 v6, s13
	v_add_co_u32_e32 v13, vcc, s12, v56
	v_addc_co_u32_e32 v14, vcc, v6, v57, vcc
	v_lshlrev_b64 v[4:5], 4, v[4:5]
	v_mov_b32_e32 v6, v9
	v_mad_u64_u32 v[9:10], s[0:1], s3, v7, v[6:7]
	v_add_co_u32_e32 v10, vcc, v13, v4
	v_addc_co_u32_e32 v11, vcc, v14, v5, vcc
	ds_read_b128 v[4:7], v111 offset:1232
	s_waitcnt lgkmcnt(1)
	global_store_dwordx4 v[10:11], v[0:3], off
	s_nop 0
	v_add_u32_e32 v2, 0x9a, v110
	v_lshlrev_b64 v[0:1], 4, v[8:9]
	v_mad_u64_u32 v[8:9], s[0:1], s2, v2, 0
	v_add_co_u32_e32 v0, vcc, v13, v0
	v_addc_co_u32_e32 v1, vcc, v14, v1, vcc
	s_waitcnt lgkmcnt(0)
	global_store_dwordx4 v[0:1], v[4:7], off
	v_mov_b32_e32 v0, v9
	v_add_u32_e32 v7, 0xe7, v110
	v_mad_u64_u32 v[0:1], s[0:1], s3, v2, v[0:1]
	v_mad_u64_u32 v[10:11], s[0:1], s2, v7, 0
	v_mov_b32_e32 v9, v0
	ds_read_b128 v[0:3], v111 offset:2464
	v_mov_b32_e32 v6, v11
	v_lshlrev_b64 v[4:5], 4, v[8:9]
	v_mad_u64_u32 v[8:9], s[0:1], s3, v7, v[6:7]
	v_add_co_u32_e32 v11, vcc, v13, v4
	v_addc_co_u32_e32 v12, vcc, v14, v5, vcc
	ds_read_b128 v[4:7], v111 offset:3696
	s_waitcnt lgkmcnt(1)
	global_store_dwordx4 v[11:12], v[0:3], off
	v_mov_b32_e32 v11, v8
	v_add_u32_e32 v2, 0x134, v110
	v_lshlrev_b64 v[0:1], 4, v[10:11]
	v_mad_u64_u32 v[8:9], s[0:1], s2, v2, 0
	v_add_co_u32_e32 v0, vcc, v13, v0
	v_addc_co_u32_e32 v1, vcc, v14, v1, vcc
	s_waitcnt lgkmcnt(0)
	global_store_dwordx4 v[0:1], v[4:7], off
	v_mov_b32_e32 v0, v9
	v_add_u32_e32 v7, 0x181, v110
	v_mad_u64_u32 v[0:1], s[0:1], s3, v2, v[0:1]
	v_mad_u64_u32 v[10:11], s[0:1], s2, v7, 0
	v_mov_b32_e32 v9, v0
	ds_read_b128 v[0:3], v111 offset:4928
	v_mov_b32_e32 v6, v11
	v_lshlrev_b64 v[4:5], 4, v[8:9]
	v_mad_u64_u32 v[8:9], s[0:1], s3, v7, v[6:7]
	v_add_co_u32_e32 v11, vcc, v13, v4
	v_addc_co_u32_e32 v12, vcc, v14, v5, vcc
	ds_read_b128 v[4:7], v111 offset:6160
	s_waitcnt lgkmcnt(1)
	global_store_dwordx4 v[11:12], v[0:3], off
	v_mov_b32_e32 v11, v8
	v_lshlrev_b64 v[0:1], 4, v[10:11]
	v_add_co_u32_e32 v0, vcc, v13, v0
	v_addc_co_u32_e32 v1, vcc, v14, v1, vcc
	s_waitcnt lgkmcnt(0)
	global_store_dwordx4 v[0:1], v[4:7], off
.LBB0_18:
	s_endpgm
	.section	.rodata,"a",@progbits
	.p2align	6, 0x0
	.amdhsa_kernel fft_rtc_fwd_len462_factors_11_6_7_wgs_231_tpt_77_dp_ip_CI_sbrr_dirReg
		.amdhsa_group_segment_fixed_size 0
		.amdhsa_private_segment_fixed_size 0
		.amdhsa_kernarg_size 88
		.amdhsa_user_sgpr_count 6
		.amdhsa_user_sgpr_private_segment_buffer 1
		.amdhsa_user_sgpr_dispatch_ptr 0
		.amdhsa_user_sgpr_queue_ptr 0
		.amdhsa_user_sgpr_kernarg_segment_ptr 1
		.amdhsa_user_sgpr_dispatch_id 0
		.amdhsa_user_sgpr_flat_scratch_init 0
		.amdhsa_user_sgpr_private_segment_size 0
		.amdhsa_uses_dynamic_stack 0
		.amdhsa_system_sgpr_private_segment_wavefront_offset 0
		.amdhsa_system_sgpr_workgroup_id_x 1
		.amdhsa_system_sgpr_workgroup_id_y 0
		.amdhsa_system_sgpr_workgroup_id_z 0
		.amdhsa_system_sgpr_workgroup_info 0
		.amdhsa_system_vgpr_workitem_id 0
		.amdhsa_next_free_vgpr 139
		.amdhsa_next_free_sgpr 40
		.amdhsa_reserve_vcc 1
		.amdhsa_reserve_flat_scratch 0
		.amdhsa_float_round_mode_32 0
		.amdhsa_float_round_mode_16_64 0
		.amdhsa_float_denorm_mode_32 3
		.amdhsa_float_denorm_mode_16_64 3
		.amdhsa_dx10_clamp 1
		.amdhsa_ieee_mode 1
		.amdhsa_fp16_overflow 0
		.amdhsa_exception_fp_ieee_invalid_op 0
		.amdhsa_exception_fp_denorm_src 0
		.amdhsa_exception_fp_ieee_div_zero 0
		.amdhsa_exception_fp_ieee_overflow 0
		.amdhsa_exception_fp_ieee_underflow 0
		.amdhsa_exception_fp_ieee_inexact 0
		.amdhsa_exception_int_div_zero 0
	.end_amdhsa_kernel
	.text
.Lfunc_end0:
	.size	fft_rtc_fwd_len462_factors_11_6_7_wgs_231_tpt_77_dp_ip_CI_sbrr_dirReg, .Lfunc_end0-fft_rtc_fwd_len462_factors_11_6_7_wgs_231_tpt_77_dp_ip_CI_sbrr_dirReg
                                        ; -- End function
	.section	.AMDGPU.csdata,"",@progbits
; Kernel info:
; codeLenInByte = 7052
; NumSgprs: 44
; NumVgprs: 139
; ScratchSize: 0
; MemoryBound: 0
; FloatMode: 240
; IeeeMode: 1
; LDSByteSize: 0 bytes/workgroup (compile time only)
; SGPRBlocks: 5
; VGPRBlocks: 34
; NumSGPRsForWavesPerEU: 44
; NumVGPRsForWavesPerEU: 139
; Occupancy: 1
; WaveLimiterHint : 1
; COMPUTE_PGM_RSRC2:SCRATCH_EN: 0
; COMPUTE_PGM_RSRC2:USER_SGPR: 6
; COMPUTE_PGM_RSRC2:TRAP_HANDLER: 0
; COMPUTE_PGM_RSRC2:TGID_X_EN: 1
; COMPUTE_PGM_RSRC2:TGID_Y_EN: 0
; COMPUTE_PGM_RSRC2:TGID_Z_EN: 0
; COMPUTE_PGM_RSRC2:TIDIG_COMP_CNT: 0
	.type	__hip_cuid_a4c95c8d26ef6c01,@object ; @__hip_cuid_a4c95c8d26ef6c01
	.section	.bss,"aw",@nobits
	.globl	__hip_cuid_a4c95c8d26ef6c01
__hip_cuid_a4c95c8d26ef6c01:
	.byte	0                               ; 0x0
	.size	__hip_cuid_a4c95c8d26ef6c01, 1

	.ident	"AMD clang version 19.0.0git (https://github.com/RadeonOpenCompute/llvm-project roc-6.4.0 25133 c7fe45cf4b819c5991fe208aaa96edf142730f1d)"
	.section	".note.GNU-stack","",@progbits
	.addrsig
	.addrsig_sym __hip_cuid_a4c95c8d26ef6c01
	.amdgpu_metadata
---
amdhsa.kernels:
  - .args:
      - .actual_access:  read_only
        .address_space:  global
        .offset:         0
        .size:           8
        .value_kind:     global_buffer
      - .offset:         8
        .size:           8
        .value_kind:     by_value
      - .actual_access:  read_only
        .address_space:  global
        .offset:         16
        .size:           8
        .value_kind:     global_buffer
      - .actual_access:  read_only
        .address_space:  global
        .offset:         24
        .size:           8
        .value_kind:     global_buffer
      - .offset:         32
        .size:           8
        .value_kind:     by_value
      - .actual_access:  read_only
        .address_space:  global
        .offset:         40
        .size:           8
        .value_kind:     global_buffer
      - .actual_access:  read_only
        .address_space:  global
        .offset:         48
        .size:           8
        .value_kind:     global_buffer
      - .offset:         56
        .size:           4
        .value_kind:     by_value
      - .actual_access:  read_only
        .address_space:  global
        .offset:         64
        .size:           8
        .value_kind:     global_buffer
      - .actual_access:  read_only
        .address_space:  global
        .offset:         72
        .size:           8
        .value_kind:     global_buffer
      - .address_space:  global
        .offset:         80
        .size:           8
        .value_kind:     global_buffer
    .group_segment_fixed_size: 0
    .kernarg_segment_align: 8
    .kernarg_segment_size: 88
    .language:       OpenCL C
    .language_version:
      - 2
      - 0
    .max_flat_workgroup_size: 231
    .name:           fft_rtc_fwd_len462_factors_11_6_7_wgs_231_tpt_77_dp_ip_CI_sbrr_dirReg
    .private_segment_fixed_size: 0
    .sgpr_count:     44
    .sgpr_spill_count: 0
    .symbol:         fft_rtc_fwd_len462_factors_11_6_7_wgs_231_tpt_77_dp_ip_CI_sbrr_dirReg.kd
    .uniform_work_group_size: 1
    .uses_dynamic_stack: false
    .vgpr_count:     139
    .vgpr_spill_count: 0
    .wavefront_size: 64
amdhsa.target:   amdgcn-amd-amdhsa--gfx906
amdhsa.version:
  - 1
  - 2
...

	.end_amdgpu_metadata
